;; amdgpu-corpus repo=ROCm/rocFFT kind=compiled arch=gfx906 opt=O3
	.text
	.amdgcn_target "amdgcn-amd-amdhsa--gfx906"
	.amdhsa_code_object_version 6
	.protected	bluestein_single_back_len490_dim1_sp_op_CI_CI ; -- Begin function bluestein_single_back_len490_dim1_sp_op_CI_CI
	.globl	bluestein_single_back_len490_dim1_sp_op_CI_CI
	.p2align	8
	.type	bluestein_single_back_len490_dim1_sp_op_CI_CI,@function
bluestein_single_back_len490_dim1_sp_op_CI_CI: ; @bluestein_single_back_len490_dim1_sp_op_CI_CI
; %bb.0:
	v_mul_u32_u24_e32 v1, 0x3a9, v0
	s_load_dwordx4 s[0:3], s[4:5], 0x28
	v_lshrrev_b32_e32 v1, 16, v1
	v_mad_u64_u32 v[44:45], s[6:7], s6, 3, v[1:2]
	v_mov_b32_e32 v45, 0
	s_waitcnt lgkmcnt(0)
	v_cmp_gt_u64_e32 vcc, s[0:1], v[44:45]
	s_and_saveexec_b64 s[0:1], vcc
	s_cbranch_execz .LBB0_15
; %bb.1:
	s_mov_b32 s0, 0xaaaaaaab
	v_mul_hi_u32 v2, v44, s0
	v_mul_lo_u16_e32 v1, 0x46, v1
	s_load_dwordx2 s[12:13], s[4:5], 0x0
	s_load_dwordx2 s[6:7], s[4:5], 0x38
	v_sub_u16_e32 v45, v0, v1
	v_lshrrev_b32_e32 v0, 1, v2
	v_lshl_add_u32 v0, v0, 1, v0
	v_sub_u32_e32 v0, v44, v0
	v_mul_u32_u24_e32 v28, 0x1ea, v0
	v_cmp_gt_u16_e32 vcc, 49, v45
	v_lshlrev_b32_e32 v46, 3, v45
	v_lshlrev_b32_e32 v47, 3, v28
	s_and_saveexec_b64 s[14:15], vcc
	s_cbranch_execz .LBB0_3
; %bb.2:
	s_load_dwordx2 s[0:1], s[4:5], 0x18
	v_lshl_add_u32 v43, v45, 3, v47
	v_add_u32_e32 v48, v47, v46
	s_waitcnt lgkmcnt(0)
	s_load_dwordx4 s[8:11], s[0:1], 0x0
	s_waitcnt lgkmcnt(0)
	v_mad_u64_u32 v[0:1], s[0:1], s10, v44, 0
	v_mad_u64_u32 v[2:3], s[0:1], s8, v45, 0
	;; [unrolled: 1-line block ×4, first 2 shown]
	v_mov_b32_e32 v1, v4
	v_lshlrev_b64 v[0:1], 3, v[0:1]
	v_mov_b32_e32 v3, v5
	v_mov_b32_e32 v6, s3
	v_lshlrev_b64 v[2:3], 3, v[2:3]
	v_add_co_u32_e64 v0, s[0:1], s2, v0
	v_addc_co_u32_e64 v1, s[0:1], v6, v1, s[0:1]
	v_add_co_u32_e64 v0, s[0:1], v0, v2
	v_addc_co_u32_e64 v1, s[0:1], v1, v3, s[0:1]
	s_mul_i32 s0, s9, 0x188
	s_mul_hi_u32 s1, s8, 0x188
	s_mul_i32 s2, s8, 0x188
	s_add_i32 s0, s1, s0
	global_load_dwordx2 v[2:3], v[0:1], off
	global_load_dwordx2 v[4:5], v46, s[12:13]
	global_load_dwordx2 v[6:7], v46, s[12:13] offset:392
	global_load_dwordx2 v[8:9], v46, s[12:13] offset:784
	;; [unrolled: 1-line block ×8, first 2 shown]
	v_mov_b32_e32 v22, s0
	v_mov_b32_e32 v24, s0
	;; [unrolled: 1-line block ×9, first 2 shown]
	v_add_co_u32_e64 v0, s[0:1], s2, v0
	v_addc_co_u32_e64 v1, s[0:1], v1, v22, s[0:1]
	global_load_dwordx2 v[22:23], v[0:1], off
	v_add_co_u32_e64 v0, s[0:1], s2, v0
	v_addc_co_u32_e64 v1, s[0:1], v1, v24, s[0:1]
	global_load_dwordx2 v[24:25], v[0:1], off
	;; [unrolled: 3-line block ×8, first 2 shown]
	v_add_co_u32_e64 v0, s[0:1], s2, v0
	v_addc_co_u32_e64 v1, s[0:1], v1, v39, s[0:1]
	global_load_dwordx2 v[39:40], v46, s[12:13] offset:3528
	global_load_dwordx2 v[41:42], v[0:1], off
	s_waitcnt vmcnt(18)
	v_mul_f32_e32 v1, v2, v5
	v_mul_f32_e32 v0, v3, v5
	v_fma_f32 v1, v3, v4, -v1
	v_fmac_f32_e32 v0, v2, v4
	ds_write_b64 v43, v[0:1]
	v_add_u32_e32 v4, 0x400, v48
	s_waitcnt vmcnt(9)
	v_mul_f32_e32 v3, v22, v7
	v_mul_f32_e32 v2, v23, v7
	v_fma_f32 v3, v23, v6, -v3
	v_fmac_f32_e32 v2, v22, v6
	s_waitcnt vmcnt(8)
	v_mul_f32_e32 v0, v25, v9
	v_mul_f32_e32 v1, v24, v9
	v_fmac_f32_e32 v0, v24, v8
	v_fma_f32 v1, v25, v8, -v1
	ds_write2_b64 v48, v[2:3], v[0:1] offset0:49 offset1:98
	s_waitcnt vmcnt(7)
	v_mul_f32_e32 v0, v27, v11
	v_mul_f32_e32 v1, v26, v11
	v_fmac_f32_e32 v0, v26, v10
	v_fma_f32 v1, v27, v10, -v1
	s_waitcnt vmcnt(6)
	v_mul_f32_e32 v2, v30, v13
	v_mul_f32_e32 v3, v29, v13
	v_fmac_f32_e32 v2, v29, v12
	v_fma_f32 v3, v30, v12, -v3
	ds_write2_b64 v48, v[0:1], v[2:3] offset0:147 offset1:196
	s_waitcnt vmcnt(5)
	v_mul_f32_e32 v0, v32, v15
	v_mul_f32_e32 v1, v31, v15
	v_fmac_f32_e32 v0, v31, v14
	v_fma_f32 v1, v32, v14, -v1
	s_waitcnt vmcnt(4)
	v_mul_f32_e32 v2, v34, v17
	v_mul_f32_e32 v3, v33, v17
	v_fmac_f32_e32 v2, v33, v16
	v_fma_f32 v3, v34, v16, -v3
	ds_write2_b64 v4, v[0:1], v[2:3] offset0:117 offset1:166
	s_waitcnt vmcnt(3)
	v_mul_f32_e32 v0, v36, v19
	v_mul_f32_e32 v1, v35, v19
	v_fmac_f32_e32 v0, v35, v18
	v_fma_f32 v1, v36, v18, -v1
	v_add_u32_e32 v4, 0x800, v48
	s_waitcnt vmcnt(2)
	v_mul_f32_e32 v2, v38, v21
	v_mul_f32_e32 v3, v37, v21
	v_fmac_f32_e32 v2, v37, v20
	v_fma_f32 v3, v38, v20, -v3
	ds_write2_b64 v4, v[0:1], v[2:3] offset0:87 offset1:136
	s_waitcnt vmcnt(0)
	v_mul_f32_e32 v0, v42, v40
	v_mul_f32_e32 v1, v41, v40
	v_fmac_f32_e32 v0, v41, v39
	v_fma_f32 v1, v42, v39, -v1
	ds_write_b64 v48, v[0:1] offset:3528
.LBB0_3:
	s_or_b64 exec, exec, s[14:15]
	s_load_dwordx2 s[0:1], s[4:5], 0x20
	s_load_dwordx2 s[8:9], s[4:5], 0x8
	s_waitcnt lgkmcnt(0)
	s_barrier
	s_waitcnt lgkmcnt(0)
                                        ; implicit-def: $vgpr10
                                        ; implicit-def: $vgpr14
                                        ; implicit-def: $vgpr20
                                        ; implicit-def: $vgpr24
                                        ; implicit-def: $vgpr18
	s_and_saveexec_b64 s[2:3], vcc
	s_cbranch_execz .LBB0_5
; %bb.4:
	v_lshl_add_u32 v0, v28, 3, v46
	ds_read2_b64 v[16:19], v0 offset1:49
	ds_read2_b64 v[8:11], v0 offset0:98 offset1:147
	ds_read2_b64 v[12:15], v0 offset0:196 offset1:245
	v_add_u32_e32 v0, 0x800, v0
	ds_read2_b64 v[20:23], v0 offset0:38 offset1:87
	ds_read2_b64 v[24:27], v0 offset0:136 offset1:185
.LBB0_5:
	s_or_b64 exec, exec, s[2:3]
	s_waitcnt lgkmcnt(2)
	v_sub_f32_e32 v2, v8, v12
	s_waitcnt lgkmcnt(0)
	v_sub_f32_e32 v3, v24, v20
	v_add_f32_e32 v33, v3, v2
	v_add_f32_e32 v2, v24, v8
	v_fma_f32 v30, -0.5, v2, v16
	v_sub_f32_e32 v1, v13, v21
	v_mov_b32_e32 v29, v30
	v_sub_f32_e32 v0, v9, v25
	v_fmac_f32_e32 v29, 0xbf737871, v1
	v_sub_f32_e32 v2, v12, v8
	v_sub_f32_e32 v3, v20, v24
	v_fmac_f32_e32 v30, 0x3f737871, v1
	v_fmac_f32_e32 v29, 0x3f167918, v0
	v_add_f32_e32 v2, v3, v2
	v_fmac_f32_e32 v30, 0xbf167918, v0
	v_fmac_f32_e32 v29, 0x3e9e377a, v2
	;; [unrolled: 1-line block ×3, first 2 shown]
	v_sub_f32_e32 v2, v9, v13
	v_sub_f32_e32 v3, v25, v21
	v_add_f32_e32 v36, v3, v2
	v_add_f32_e32 v2, v25, v9
	v_fma_f32 v32, -0.5, v2, v17
	v_sub_f32_e32 v35, v12, v20
	v_mov_b32_e32 v31, v32
	v_sub_f32_e32 v34, v8, v24
	v_fmac_f32_e32 v31, 0x3f737871, v35
	v_sub_f32_e32 v2, v13, v9
	v_sub_f32_e32 v3, v21, v25
	v_fmac_f32_e32 v32, 0xbf737871, v35
	v_fmac_f32_e32 v31, 0xbf167918, v34
	v_add_f32_e32 v2, v3, v2
	v_fmac_f32_e32 v32, 0x3f167918, v34
	v_fmac_f32_e32 v31, 0x3e9e377a, v2
	;; [unrolled: 1-line block ×3, first 2 shown]
	v_add_f32_e32 v2, v14, v22
	v_fma_f32 v37, -0.5, v2, v18
	v_sub_f32_e32 v2, v10, v14
	v_sub_f32_e32 v3, v26, v22
	v_add_f32_e32 v40, v2, v3
	v_add_f32_e32 v3, v10, v26
	v_fma_f32 v3, -0.5, v3, v18
	v_sub_f32_e32 v39, v15, v23
	v_mov_b32_e32 v4, v3
	v_sub_f32_e32 v38, v11, v27
	v_fmac_f32_e32 v4, 0xbf737871, v39
	v_sub_f32_e32 v5, v14, v10
	v_sub_f32_e32 v6, v22, v26
	v_fmac_f32_e32 v3, 0x3f737871, v39
	v_fmac_f32_e32 v4, 0x3f167918, v38
	v_add_f32_e32 v5, v5, v6
	v_fmac_f32_e32 v3, 0xbf167918, v38
	v_fmac_f32_e32 v4, 0x3e9e377a, v5
	;; [unrolled: 1-line block ×3, first 2 shown]
	v_sub_f32_e32 v5, v11, v15
	v_sub_f32_e32 v6, v27, v23
	v_add_f32_e32 v51, v5, v6
	v_add_f32_e32 v5, v11, v27
	v_fma_f32 v5, -0.5, v5, v19
	v_sub_f32_e32 v6, v15, v11
	v_sub_f32_e32 v7, v23, v27
	;; [unrolled: 1-line block ×3, first 2 shown]
	v_add_f32_e32 v6, v6, v7
	v_mov_b32_e32 v7, v5
	v_sub_f32_e32 v48, v10, v26
	v_fmac_f32_e32 v7, 0x3f737871, v49
	v_fmac_f32_e32 v7, 0xbf167918, v48
	v_fmac_f32_e32 v7, 0x3e9e377a, v6
	v_fmac_f32_e32 v5, 0xbf737871, v49
	v_fmac_f32_e32 v5, 0x3f167918, v48
	v_mul_f32_e32 v41, 0x3f737871, v7
	s_mov_b32 s2, 0x3f737871
	v_fmac_f32_e32 v5, 0x3e9e377a, v6
	v_fmac_f32_e32 v41, 0x3e9e377a, v4
	v_mul_f32_e32 v43, 0xbf737871, v4
	v_mul_f32_e32 v4, 0x3e9e377a, v3
	s_mov_b32 s4, 0xbf737871
	v_fma_f32 v42, v5, s2, -v4
	v_mul_f32_e32 v4, 0x3e9e377a, v5
	v_fma_f32 v52, v3, s4, -v4
	v_add_f32_e32 v3, v15, v23
	v_mov_b32_e32 v2, v37
	v_fma_f32 v58, -0.5, v3, v19
	v_fmac_f32_e32 v2, 0xbf737871, v38
	v_mov_b32_e32 v3, v58
	v_fmac_f32_e32 v2, 0xbf167918, v39
	v_fmac_f32_e32 v3, 0x3f737871, v48
	;; [unrolled: 1-line block ×4, first 2 shown]
	s_mov_b32 s3, 0x3f167918
	v_fmac_f32_e32 v3, 0x3e9e377a, v51
	v_mul_f32_e32 v4, 0x3f4f1bbd, v2
	s_mov_b32 s5, 0xbf167918
	v_fma_f32 v53, v3, s3, -v4
	v_mul_f32_e32 v3, 0x3f4f1bbd, v3
	v_fma_f32 v55, v2, s5, -v3
	v_add_f32_e32 v2, v20, v12
	v_fma_f32 v57, -0.5, v2, v16
	v_add_f32_e32 v2, v21, v13
	v_fma_f32 v59, -0.5, v2, v17
	v_mov_b32_e32 v54, v57
	v_mov_b32_e32 v56, v59
	v_fmac_f32_e32 v54, 0xbf737871, v0
	v_fmac_f32_e32 v56, 0x3f737871, v34
	v_fmac_f32_e32 v54, 0xbf167918, v1
	v_fmac_f32_e32 v56, 0x3f167918, v35
	v_fmac_f32_e32 v43, 0x3e9e377a, v7
	v_fmac_f32_e32 v54, 0x3e9e377a, v33
	v_fmac_f32_e32 v56, 0x3e9e377a, v36
	s_mov_b32 s4, 0x3f4f1bbd
	v_sub_f32_e32 v4, v30, v42
	v_sub_f32_e32 v6, v54, v53
	;; [unrolled: 1-line block ×6, first 2 shown]
	v_mul_lo_u16_e32 v50, 10, v45
	s_barrier
	s_and_saveexec_b64 s[2:3], vcc
	s_cbranch_execz .LBB0_7
; %bb.6:
	v_mul_f32_e32 v60, 0x3f167918, v1
	v_mul_f32_e32 v1, 0x3f737871, v34
	;; [unrolled: 1-line block ×3, first 2 shown]
	v_sub_f32_e32 v1, v59, v1
	v_mul_f32_e32 v35, 0x3e9e377a, v36
	v_mul_f32_e32 v36, 0x3f737871, v38
	;; [unrolled: 1-line block ×5, first 2 shown]
	v_sub_f32_e32 v1, v1, v34
	v_mul_f32_e32 v48, 0x3f167918, v49
	v_add_f32_e32 v34, v35, v1
	v_sub_f32_e32 v1, v58, v40
	v_add_f32_e32 v9, v9, v17
	v_add_f32_e32 v8, v8, v16
	v_mul_f32_e32 v49, 0x3e9e377a, v51
	v_sub_f32_e32 v1, v1, v48
	v_add_f32_e32 v9, v13, v9
	v_add_f32_e32 v8, v12, v8
	;; [unrolled: 1-line block ×6, first 2 shown]
	v_mul_f32_e32 v0, 0x3f737871, v0
	v_add_f32_e32 v1, v38, v1
	v_add_f32_e32 v17, v25, v9
	;; [unrolled: 1-line block ×9, first 2 shown]
	v_mul_f32_e32 v33, 0x3e9e377a, v33
	v_mul_f32_e32 v1, 0x3f167918, v36
	v_add_f32_e32 v9, v23, v9
	v_add_f32_e32 v0, v60, v0
	v_mul_f32_e32 v25, 0x3f167918, v35
	v_add_f32_e32 v8, v22, v8
	v_fma_f32 v37, v35, s4, -v1
	v_add_f32_e32 v21, v27, v9
	v_add_f32_e32 v23, v33, v0
	v_fmac_f32_e32 v25, 0x3f4f1bbd, v36
	v_add_f32_e32 v20, v26, v8
	v_sub_f32_e32 v11, v17, v21
	v_sub_f32_e32 v10, v16, v20
	v_add_f32_e32 v19, v34, v37
	v_add_f32_e32 v17, v21, v17
	;; [unrolled: 1-line block ×4, first 2 shown]
	v_add_lshl_u32 v20, v28, v50, 3
	v_sub_f32_e32 v1, v34, v37
	v_sub_f32_e32 v0, v23, v25
	v_add_f32_e32 v9, v56, v55
	v_add_f32_e32 v15, v32, v52
	;; [unrolled: 1-line block ×6, first 2 shown]
	ds_write_b128 v20, v[16:19]
	ds_write_b128 v20, v[12:15] offset:16
	ds_write_b128 v20, v[8:11] offset:32
	ds_write_b128 v20, v[0:3] offset:48
	ds_write_b128 v20, v[4:7] offset:64
.LBB0_7:
	s_or_b64 exec, exec, s[2:3]
	s_movk_i32 s4, 0xcd
	v_mul_lo_u16_sdwa v0, v45, s4 dst_sel:DWORD dst_unused:UNUSED_PAD src0_sel:BYTE_0 src1_sel:DWORD
	v_lshrrev_b16_e32 v33, 11, v0
	v_mul_lo_u16_e32 v0, 10, v33
	v_sub_u16_e32 v34, v45, v0
	v_mov_b32_e32 v0, 6
	v_mul_u32_u24_sdwa v0, v34, v0 dst_sel:DWORD dst_unused:UNUSED_PAD src0_sel:BYTE_0 src1_sel:DWORD
	v_lshlrev_b32_e32 v0, 3, v0
	s_load_dwordx4 s[0:3], s[0:1], 0x0
	s_waitcnt lgkmcnt(0)
	s_barrier
	global_load_dwordx4 v[16:19], v0, s[8:9]
	global_load_dwordx4 v[12:15], v0, s[8:9] offset:16
	global_load_dwordx4 v[8:11], v0, s[8:9] offset:32
	v_add_lshl_u32 v49, v28, v45, 3
	ds_read2_b64 v[20:23], v49 offset1:70
	ds_read2_b64 v[24:27], v49 offset0:140 offset1:210
	v_add_u32_e32 v40, 0x800, v49
	ds_read_b64 v[0:1], v49 offset:3360
	ds_read2_b64 v[29:32], v40 offset0:24 offset1:94
	s_mov_b32 s5, 0x3f3bfb3b
	s_mov_b32 s4, 0x3f5ff5aa
	;; [unrolled: 1-line block ×4, first 2 shown]
	v_mul_u32_u24_e32 v33, 0x46, v33
	v_add_u32_sdwa v33, v33, v34 dst_sel:DWORD dst_unused:UNUSED_PAD src0_sel:DWORD src1_sel:BYTE_0
	s_waitcnt vmcnt(0) lgkmcnt(0)
	s_barrier
	v_mul_f32_e32 v35, v23, v17
	v_mul_f32_e32 v36, v22, v17
	;; [unrolled: 1-line block ×12, first 2 shown]
	v_fma_f32 v22, v22, v16, -v35
	v_fmac_f32_e32 v36, v23, v16
	v_fma_f32 v23, v24, v18, -v37
	v_fmac_f32_e32 v38, v25, v18
	v_fma_f32 v24, v26, v12, -v39
	v_fma_f32 v26, v31, v8, -v48
	v_fmac_f32_e32 v51, v32, v8
	v_fma_f32 v0, v0, v10, -v52
	v_fmac_f32_e32 v53, v1, v10
	v_fmac_f32_e32 v41, v27, v12
	v_fma_f32 v25, v29, v14, -v42
	v_fmac_f32_e32 v43, v30, v14
	v_add_f32_e32 v1, v22, v0
	v_add_f32_e32 v27, v36, v53
	;; [unrolled: 1-line block ×4, first 2 shown]
	v_sub_f32_e32 v0, v22, v0
	v_sub_f32_e32 v22, v36, v53
	;; [unrolled: 1-line block ×4, first 2 shown]
	v_add_f32_e32 v31, v24, v25
	v_add_f32_e32 v32, v41, v43
	v_sub_f32_e32 v24, v25, v24
	v_sub_f32_e32 v25, v43, v41
	v_add_f32_e32 v35, v29, v1
	v_add_f32_e32 v36, v30, v27
	v_sub_f32_e32 v37, v29, v1
	v_sub_f32_e32 v38, v30, v27
	;; [unrolled: 1-line block ×6, first 2 shown]
	v_add_f32_e32 v39, v24, v23
	v_add_f32_e32 v41, v25, v26
	v_add_f32_e32 v31, v31, v35
	v_add_f32_e32 v32, v32, v36
	v_sub_f32_e32 v42, v24, v23
	v_sub_f32_e32 v43, v25, v26
	;; [unrolled: 1-line block ×6, first 2 shown]
	v_add_f32_e32 v35, v39, v0
	v_add_f32_e32 v22, v41, v22
	v_mul_f32_e32 v36, 0x3f4a47b2, v1
	v_mul_f32_e32 v39, 0x3d64c772, v29
	;; [unrolled: 1-line block ×3, first 2 shown]
	v_add_f32_e32 v0, v20, v31
	v_add_f32_e32 v1, v21, v32
	v_mul_f32_e32 v27, 0x3f4a47b2, v27
	v_mul_f32_e32 v42, 0xbf08b237, v42
	;; [unrolled: 1-line block ×3, first 2 shown]
	v_fma_f32 v20, v37, s5, -v39
	v_fma_f32 v21, v38, s5, -v41
	v_mov_b32_e32 v39, v0
	v_mov_b32_e32 v41, v1
	v_mul_f32_e32 v48, 0x3f5ff5aa, v23
	v_mul_f32_e32 v51, 0x3f5ff5aa, v26
	v_fmac_f32_e32 v39, 0xbf955555, v31
	v_fmac_f32_e32 v41, 0xbf955555, v32
	v_fma_f32 v31, v37, s10, -v36
	v_fmac_f32_e32 v36, 0x3d64c772, v29
	v_fma_f32 v29, v38, s10, -v27
	;; [unrolled: 2-line block ×5, first 2 shown]
	v_fma_f32 v37, v25, s11, -v51
	v_add_f32_e32 v36, v36, v39
	v_add_f32_e32 v38, v27, v41
	v_fmac_f32_e32 v42, 0x3ee1c552, v35
	v_fmac_f32_e32 v43, 0x3ee1c552, v22
	v_add_f32_e32 v27, v20, v39
	v_add_f32_e32 v48, v21, v41
	;; [unrolled: 1-line block ×4, first 2 shown]
	v_fmac_f32_e32 v30, 0x3ee1c552, v35
	v_fmac_f32_e32 v26, 0x3ee1c552, v22
	;; [unrolled: 1-line block ×4, first 2 shown]
	v_add_f32_e32 v20, v43, v36
	v_sub_f32_e32 v21, v38, v42
	v_add_lshl_u32 v51, v28, v33, 3
	v_add_f32_e32 v22, v37, v31
	v_sub_f32_e32 v23, v39, v32
	v_sub_f32_e32 v24, v27, v26
	v_add_f32_e32 v25, v30, v48
	v_add_f32_e32 v26, v26, v27
	v_sub_f32_e32 v27, v48, v30
	v_sub_f32_e32 v29, v31, v37
	v_add_f32_e32 v30, v32, v39
	v_sub_f32_e32 v31, v36, v43
	v_add_f32_e32 v32, v42, v38
	ds_write2_b64 v51, v[0:1], v[20:21] offset1:10
	ds_write2_b64 v51, v[22:23], v[24:25] offset0:20 offset1:30
	ds_write2_b64 v51, v[26:27], v[29:30] offset0:40 offset1:50
	ds_write_b64 v51, v[31:32] offset:480
	v_mad_u64_u32 v[0:1], s[8:9], v45, 48, s[8:9]
	s_waitcnt lgkmcnt(0)
	s_barrier
	global_load_dwordx4 v[28:31], v[0:1], off offset:480
	global_load_dwordx4 v[24:27], v[0:1], off offset:496
	;; [unrolled: 1-line block ×3, first 2 shown]
	ds_read2_b64 v[32:35], v49 offset1:70
	ds_read2_b64 v[36:39], v49 offset0:140 offset1:210
	ds_read2_b64 v[40:43], v40 offset0:24 offset1:94
	ds_read_b64 v[0:1], v49 offset:3360
	s_waitcnt vmcnt(2) lgkmcnt(3)
	v_mul_f32_e32 v48, v35, v29
	v_mul_f32_e32 v52, v34, v29
	s_waitcnt lgkmcnt(2)
	v_mul_f32_e32 v53, v37, v31
	s_waitcnt vmcnt(1)
	v_mul_f32_e32 v55, v39, v25
	s_waitcnt vmcnt(0) lgkmcnt(1)
	v_mul_f32_e32 v59, v43, v21
	s_waitcnt lgkmcnt(0)
	v_mul_f32_e32 v61, v1, v23
	v_mul_f32_e32 v54, v36, v31
	;; [unrolled: 1-line block ×6, first 2 shown]
	v_fma_f32 v34, v34, v28, -v48
	v_fmac_f32_e32 v52, v35, v28
	v_fma_f32 v35, v36, v30, -v53
	v_fma_f32 v36, v38, v24, -v55
	;; [unrolled: 1-line block ×4, first 2 shown]
	v_mul_f32_e32 v58, v40, v27
	v_fmac_f32_e32 v54, v37, v30
	v_fma_f32 v37, v40, v26, -v57
	v_fmac_f32_e32 v60, v43, v20
	v_fmac_f32_e32 v62, v1, v22
	v_add_f32_e32 v1, v34, v0
	v_add_f32_e32 v40, v35, v38
	v_fmac_f32_e32 v56, v39, v24
	v_fmac_f32_e32 v58, v41, v26
	v_add_f32_e32 v39, v52, v62
	v_add_f32_e32 v41, v54, v60
	;; [unrolled: 1-line block ×4, first 2 shown]
	v_sub_f32_e32 v0, v34, v0
	v_sub_f32_e32 v34, v52, v62
	v_add_f32_e32 v43, v56, v58
	v_add_f32_e32 v52, v41, v39
	v_sub_f32_e32 v53, v40, v1
	v_sub_f32_e32 v1, v1, v42
	;; [unrolled: 1-line block ×3, first 2 shown]
	v_add_f32_e32 v42, v42, v48
	v_sub_f32_e32 v35, v35, v38
	v_sub_f32_e32 v38, v54, v60
	;; [unrolled: 1-line block ×6, first 2 shown]
	v_add_f32_e32 v43, v43, v52
	v_add_f32_e32 v32, v32, v42
	v_sub_f32_e32 v37, v58, v56
	v_add_f32_e32 v55, v36, v35
	v_sub_f32_e32 v57, v36, v35
	v_add_f32_e32 v33, v33, v43
	v_mov_b32_e32 v59, v32
	v_add_f32_e32 v56, v37, v38
	v_sub_f32_e32 v58, v37, v38
	v_sub_f32_e32 v36, v0, v36
	v_sub_f32_e32 v35, v35, v0
	v_sub_f32_e32 v38, v38, v34
	v_add_f32_e32 v0, v55, v0
	v_mul_f32_e32 v1, 0x3f4a47b2, v1
	v_mul_f32_e32 v39, 0x3f4a47b2, v39
	;; [unrolled: 1-line block ×5, first 2 shown]
	v_fmac_f32_e32 v59, 0xbf955555, v42
	v_mov_b32_e32 v42, v33
	v_sub_f32_e32 v37, v34, v37
	v_add_f32_e32 v34, v56, v34
	v_mul_f32_e32 v56, 0xbf08b237, v58
	v_mul_f32_e32 v57, 0x3f5ff5aa, v35
	;; [unrolled: 1-line block ×3, first 2 shown]
	v_fmac_f32_e32 v42, 0xbf955555, v43
	v_fma_f32 v43, v53, s5, -v48
	v_fma_f32 v48, v54, s5, -v52
	;; [unrolled: 1-line block ×3, first 2 shown]
	v_fmac_f32_e32 v1, 0x3d64c772, v40
	v_fma_f32 v40, v54, s10, -v39
	v_fmac_f32_e32 v39, 0x3d64c772, v41
	v_fma_f32 v41, v35, s4, -v55
	;; [unrolled: 2-line block ×4, first 2 shown]
	v_fma_f32 v57, v37, s11, -v58
	v_add_f32_e32 v48, v48, v42
	v_fmac_f32_e32 v41, 0x3ee1c552, v0
	v_add_f32_e32 v1, v1, v59
	v_add_f32_e32 v58, v39, v42
	;; [unrolled: 1-line block ×5, first 2 shown]
	v_fmac_f32_e32 v55, 0x3ee1c552, v0
	v_fmac_f32_e32 v56, 0x3ee1c552, v34
	;; [unrolled: 1-line block ×5, first 2 shown]
	v_add_f32_e32 v39, v41, v48
	v_sub_f32_e32 v41, v48, v41
	v_lshl_add_u32 v48, v45, 3, v47
	v_add_f32_e32 v34, v56, v1
	v_sub_f32_e32 v35, v58, v55
	v_add_f32_e32 v36, v57, v52
	v_sub_f32_e32 v37, v59, v54
	v_sub_f32_e32 v38, v43, v53
	v_add_f32_e32 v40, v53, v43
	v_sub_f32_e32 v42, v52, v57
	v_add_f32_e32 v43, v54, v59
	;; [unrolled: 2-line block ×3, first 2 shown]
	v_add_u32_e32 v52, 0x800, v48
	ds_write2_b64 v48, v[32:33], v[34:35] offset1:70
	ds_write2_b64 v48, v[36:37], v[38:39] offset0:140 offset1:210
	ds_write2_b64 v52, v[40:41], v[42:43] offset0:24 offset1:94
	ds_write_b64 v48, v[0:1] offset:3360
	s_waitcnt lgkmcnt(0)
	s_barrier
	s_and_saveexec_b64 s[4:5], vcc
	s_cbranch_execz .LBB0_9
; %bb.8:
	global_load_dwordx2 v[57:58], v46, s[12:13] offset:3920
	ds_read2_b64 v[53:56], v48 offset1:49
	s_add_u32 s8, s12, 0xf50
	s_addc_u32 s9, s13, 0
	s_waitcnt vmcnt(0) lgkmcnt(0)
	v_mul_f32_e32 v59, v54, v58
	v_mul_f32_e32 v60, v53, v58
	v_fma_f32 v59, v53, v57, -v59
	v_fmac_f32_e32 v60, v54, v57
	global_load_dwordx2 v[53:54], v46, s[8:9] offset:392
	s_waitcnt vmcnt(0)
	v_mul_f32_e32 v57, v56, v54
	v_mul_f32_e32 v58, v55, v54
	v_fma_f32 v57, v55, v53, -v57
	v_fmac_f32_e32 v58, v56, v53
	ds_write2_b64 v48, v[59:60], v[57:58] offset1:49
	global_load_dwordx2 v[57:58], v46, s[8:9] offset:784
	ds_read2_b64 v[53:56], v48 offset0:98 offset1:147
	s_waitcnt vmcnt(0) lgkmcnt(0)
	v_mul_f32_e32 v59, v54, v58
	v_mul_f32_e32 v60, v53, v58
	v_fma_f32 v59, v53, v57, -v59
	v_fmac_f32_e32 v60, v54, v57
	global_load_dwordx2 v[53:54], v46, s[8:9] offset:1176
	s_waitcnt vmcnt(0)
	v_mul_f32_e32 v57, v56, v54
	v_mul_f32_e32 v58, v55, v54
	v_fma_f32 v57, v55, v53, -v57
	v_fmac_f32_e32 v58, v56, v53
	ds_write2_b64 v48, v[59:60], v[57:58] offset0:98 offset1:147
	global_load_dwordx2 v[57:58], v46, s[8:9] offset:1568
	ds_read2_b64 v[53:56], v48 offset0:196 offset1:245
	s_waitcnt vmcnt(0) lgkmcnt(0)
	v_mul_f32_e32 v59, v54, v58
	v_mul_f32_e32 v60, v53, v58
	v_fma_f32 v59, v53, v57, -v59
	v_fmac_f32_e32 v60, v54, v57
	global_load_dwordx2 v[53:54], v46, s[8:9] offset:1960
	s_waitcnt vmcnt(0)
	v_mul_f32_e32 v57, v56, v54
	v_mul_f32_e32 v58, v55, v54
	v_fma_f32 v57, v55, v53, -v57
	v_fmac_f32_e32 v58, v56, v53
	ds_write2_b64 v48, v[59:60], v[57:58] offset0:196 offset1:245
	;; [unrolled: 14-line block ×4, first 2 shown]
.LBB0_9:
	s_or_b64 exec, exec, s[4:5]
	s_waitcnt lgkmcnt(0)
	s_barrier
	s_and_saveexec_b64 s[4:5], vcc
	s_cbranch_execz .LBB0_11
; %bb.10:
	ds_read2_b64 v[32:35], v48 offset1:49
	ds_read2_b64 v[36:39], v48 offset0:98 offset1:147
	ds_read2_b64 v[40:43], v48 offset0:196 offset1:245
	v_add_u32_e32 v4, 0x800, v48
	ds_read2_b64 v[0:3], v4 offset0:38 offset1:87
	ds_read2_b64 v[4:7], v4 offset0:136 offset1:185
.LBB0_11:
	s_or_b64 exec, exec, s[4:5]
	s_waitcnt lgkmcnt(0)
	s_barrier
	s_and_saveexec_b64 s[4:5], vcc
	s_cbranch_execz .LBB0_13
; %bb.12:
	v_sub_f32_e32 v52, v37, v41
	v_sub_f32_e32 v53, v5, v1
	v_add_f32_e32 v52, v53, v52
	v_add_f32_e32 v53, v1, v41
	v_fma_f32 v60, -0.5, v53, v33
	v_sub_f32_e32 v53, v38, v42
	v_sub_f32_e32 v55, v6, v2
	v_add_f32_e32 v57, v53, v55
	v_add_f32_e32 v53, v42, v2
	v_fma_f32 v62, -0.5, v53, v34
	;; [unrolled: 5-line block ×6, first 2 shown]
	v_add_f32_e32 v35, v39, v35
	v_add_f32_e32 v35, v43, v35
	v_sub_f32_e32 v64, v43, v3
	v_add_f32_e32 v3, v3, v35
	v_sub_f32_e32 v58, v39, v7
	;; [unrolled: 2-line block ×3, first 2 shown]
	v_sub_f32_e32 v7, v4, v0
	v_add_f32_e32 v33, v37, v33
	v_add_f32_e32 v3, v7, v3
	;; [unrolled: 1-line block ×3, first 2 shown]
	v_sub_f32_e32 v67, v38, v6
	v_mov_b32_e32 v68, v66
	v_sub_f32_e32 v69, v42, v2
	v_mov_b32_e32 v78, v77
	v_add_f32_e32 v33, v41, v33
	v_fma_f32 v43, -0.5, v7, v32
	v_sub_f32_e32 v7, v40, v36
	v_sub_f32_e32 v35, v0, v4
	v_fmac_f32_e32 v68, 0xbf737871, v67
	v_fmac_f32_e32 v78, 0x3f737871, v69
	;; [unrolled: 1-line block ×4, first 2 shown]
	v_add_f32_e32 v33, v1, v33
	v_add_f32_e32 v7, v35, v7
	;; [unrolled: 1-line block ×3, first 2 shown]
	v_fmac_f32_e32 v68, 0xbf167918, v69
	v_fmac_f32_e32 v78, 0xbf167918, v67
	;; [unrolled: 1-line block ×4, first 2 shown]
	v_add_f32_e32 v33, v5, v33
	v_sub_f32_e32 v5, v37, v5
	v_sub_f32_e32 v1, v41, v1
	v_fma_f32 v41, -0.5, v35, v32
	v_mov_b32_e32 v67, v43
	v_fmac_f32_e32 v68, 0x3e9e377a, v65
	v_fmac_f32_e32 v66, 0x3e9e377a, v65
	v_mov_b32_e32 v65, v41
	v_fmac_f32_e32 v67, 0x3f737871, v5
	v_fmac_f32_e32 v43, 0xbf737871, v5
	;; [unrolled: 1-line block ×6, first 2 shown]
	v_add_f32_e32 v1, v36, v32
	v_add_f32_e32 v1, v40, v1
	v_sub_f32_e32 v56, v40, v0
	v_mov_b32_e32 v63, v62
	v_add_f32_e32 v0, v0, v1
	v_sub_f32_e32 v54, v36, v4
	v_fmac_f32_e32 v63, 0x3f737871, v58
	v_mov_b32_e32 v75, v74
	v_fmac_f32_e32 v62, 0xbf737871, v58
	v_add_f32_e32 v32, v4, v0
	v_add_f32_e32 v0, v38, v34
	v_mov_b32_e32 v61, v60
	v_fmac_f32_e32 v63, 0x3f167918, v64
	v_mov_b32_e32 v72, v71
	v_fmac_f32_e32 v75, 0xbf737871, v64
	v_fmac_f32_e32 v74, 0x3f737871, v64
	;; [unrolled: 1-line block ×4, first 2 shown]
	v_add_f32_e32 v0, v42, v0
	v_fmac_f32_e32 v61, 0xbf737871, v54
	v_fmac_f32_e32 v63, 0x3e9e377a, v57
	v_mul_f32_e32 v70, 0xbf4f1bbd, v68
	v_fmac_f32_e32 v72, 0x3f737871, v56
	v_fmac_f32_e32 v75, 0x3f167918, v58
	;; [unrolled: 1-line block ×8, first 2 shown]
	v_mul_f32_e32 v64, 0x3f4f1bbd, v66
	v_mul_f32_e32 v37, 0xbf167918, v68
	;; [unrolled: 1-line block ×3, first 2 shown]
	v_add_f32_e32 v0, v2, v0
	v_fmac_f32_e32 v61, 0xbf167918, v56
	v_fmac_f32_e32 v70, 0x3f167918, v63
	;; [unrolled: 1-line block ×4, first 2 shown]
	v_mul_f32_e32 v79, 0xbe9e377a, v78
	v_fmac_f32_e32 v71, 0x3f167918, v54
	v_fmac_f32_e32 v74, 0x3e9e377a, v73
	v_mul_f32_e32 v73, 0x3e9e377a, v77
	v_fmac_f32_e32 v60, 0x3e9e377a, v52
	v_fmac_f32_e32 v64, 0x3f167918, v62
	;; [unrolled: 1-line block ×3, first 2 shown]
	v_mul_f32_e32 v63, 0xbf737871, v78
	v_fmac_f32_e32 v65, 0x3f167918, v5
	v_fmac_f32_e32 v41, 0xbf167918, v5
	v_mul_f32_e32 v68, 0xbf737871, v77
	v_fmac_f32_e32 v43, 0x3e9e377a, v3
	v_fmac_f32_e32 v66, 0x3f4f1bbd, v62
	v_add_f32_e32 v36, v6, v0
	v_fmac_f32_e32 v61, 0x3e9e377a, v52
	v_fmac_f32_e32 v72, 0x3e9e377a, v59
	;; [unrolled: 1-line block ×10, first 2 shown]
	v_sub_f32_e32 v3, v33, v39
	v_sub_f32_e32 v2, v32, v36
	v_add_f32_e32 v35, v60, v64
	v_add_f32_e32 v33, v39, v33
	;; [unrolled: 1-line block ×4, first 2 shown]
	v_lshl_add_u32 v36, v50, 3, v47
	v_sub_f32_e32 v55, v61, v70
	v_sub_f32_e32 v53, v72, v79
	;; [unrolled: 1-line block ×8, first 2 shown]
	v_add_f32_e32 v1, v61, v70
	v_add_f32_e32 v7, v72, v79
	;; [unrolled: 1-line block ×6, first 2 shown]
	ds_write_b128 v36, v[32:35]
	ds_write_b128 v36, v[4:7] offset:16
	ds_write_b128 v36, v[0:3] offset:32
	;; [unrolled: 1-line block ×4, first 2 shown]
.LBB0_13:
	s_or_b64 exec, exec, s[4:5]
	s_waitcnt lgkmcnt(0)
	s_barrier
	ds_read2_b64 v[0:3], v49 offset1:70
	ds_read2_b64 v[4:7], v49 offset0:140 offset1:210
	v_add_u32_e32 v38, 0x800, v49
	ds_read2_b64 v[32:35], v38 offset0:24 offset1:94
	ds_read_b64 v[36:37], v49 offset:3360
	s_mov_b32 s4, 0xbf5ff5aa
	s_waitcnt lgkmcnt(3)
	v_mul_f32_e32 v39, v17, v3
	v_fmac_f32_e32 v39, v16, v2
	v_mul_f32_e32 v2, v17, v2
	v_fma_f32 v2, v16, v3, -v2
	s_waitcnt lgkmcnt(2)
	v_mul_f32_e32 v3, v19, v5
	v_fmac_f32_e32 v3, v18, v4
	v_mul_f32_e32 v4, v19, v4
	v_fma_f32 v4, v18, v5, -v4
	v_mul_f32_e32 v5, v13, v7
	v_fmac_f32_e32 v5, v12, v6
	v_mul_f32_e32 v6, v13, v6
	s_waitcnt lgkmcnt(1)
	v_mul_f32_e32 v13, v9, v35
	v_mul_f32_e32 v9, v9, v34
	v_fmac_f32_e32 v13, v8, v34
	v_fma_f32 v8, v8, v35, -v9
	s_waitcnt lgkmcnt(0)
	v_mul_f32_e32 v9, v11, v37
	v_mul_f32_e32 v11, v11, v36
	v_fma_f32 v6, v12, v7, -v6
	v_mul_f32_e32 v7, v15, v33
	v_mul_f32_e32 v12, v15, v32
	v_fmac_f32_e32 v9, v10, v36
	v_fma_f32 v10, v10, v37, -v11
	v_fmac_f32_e32 v7, v14, v32
	v_fma_f32 v12, v14, v33, -v12
	v_add_f32_e32 v11, v39, v9
	v_add_f32_e32 v14, v2, v10
	v_sub_f32_e32 v2, v2, v10
	v_add_f32_e32 v10, v3, v13
	v_add_f32_e32 v15, v4, v8
	v_sub_f32_e32 v4, v4, v8
	v_add_f32_e32 v8, v5, v7
	v_sub_f32_e32 v5, v7, v5
	;; [unrolled: 2-line block ×4, first 2 shown]
	v_add_f32_e32 v12, v15, v14
	v_add_f32_e32 v7, v8, v7
	v_sub_f32_e32 v9, v39, v9
	v_sub_f32_e32 v16, v10, v11
	;; [unrolled: 1-line block ×4, first 2 shown]
	v_add_f32_e32 v8, v13, v12
	v_add_f32_e32 v0, v0, v7
	v_sub_f32_e32 v17, v15, v14
	v_sub_f32_e32 v14, v14, v13
	;; [unrolled: 1-line block ×3, first 2 shown]
	v_add_f32_e32 v18, v5, v3
	v_add_f32_e32 v19, v6, v4
	v_sub_f32_e32 v32, v5, v3
	v_sub_f32_e32 v33, v6, v4
	;; [unrolled: 1-line block ×4, first 2 shown]
	v_add_f32_e32 v1, v1, v8
	v_mov_b32_e32 v34, v0
	v_sub_f32_e32 v5, v9, v5
	v_sub_f32_e32 v6, v2, v6
	v_add_f32_e32 v9, v18, v9
	v_add_f32_e32 v2, v19, v2
	v_mul_f32_e32 v11, 0x3f4a47b2, v11
	v_mul_f32_e32 v12, 0x3f4a47b2, v14
	;; [unrolled: 1-line block ×8, first 2 shown]
	v_fmac_f32_e32 v34, 0xbf955555, v7
	v_mov_b32_e32 v7, v1
	s_mov_b32 s5, 0x3f3bfb3b
	s_mov_b32 s8, 0xbf3bfb3b
	;; [unrolled: 1-line block ×3, first 2 shown]
	v_fmac_f32_e32 v7, 0xbf955555, v8
	v_fma_f32 v8, v16, s5, -v13
	v_fma_f32 v13, v17, s5, -v14
	;; [unrolled: 1-line block ×3, first 2 shown]
	v_fmac_f32_e32 v11, 0x3d64c772, v10
	v_fma_f32 v10, v17, s8, -v12
	v_fmac_f32_e32 v12, 0x3d64c772, v15
	v_fma_f32 v15, v3, s4, -v18
	;; [unrolled: 2-line block ×4, first 2 shown]
	v_fma_f32 v32, v6, s9, -v33
	v_add_f32_e32 v33, v11, v34
	v_add_f32_e32 v35, v12, v7
	;; [unrolled: 1-line block ×6, first 2 shown]
	v_fmac_f32_e32 v18, 0xbee1c552, v9
	v_fmac_f32_e32 v19, 0xbee1c552, v2
	;; [unrolled: 1-line block ×6, first 2 shown]
	v_add_f32_e32 v2, v19, v33
	v_sub_f32_e32 v3, v35, v18
	v_add_f32_e32 v4, v32, v12
	v_sub_f32_e32 v5, v13, v17
	v_sub_f32_e32 v6, v8, v16
	v_add_f32_e32 v7, v15, v11
	v_add_f32_e32 v8, v16, v8
	v_sub_f32_e32 v9, v11, v15
	v_sub_f32_e32 v10, v12, v32
	v_add_f32_e32 v11, v17, v13
	v_sub_f32_e32 v12, v33, v19
	v_add_f32_e32 v13, v18, v35
	s_barrier
	ds_write2_b64 v51, v[0:1], v[2:3] offset1:10
	ds_write2_b64 v51, v[4:5], v[6:7] offset0:20 offset1:30
	ds_write2_b64 v51, v[8:9], v[10:11] offset0:40 offset1:50
	ds_write_b64 v51, v[12:13] offset:480
	s_waitcnt lgkmcnt(0)
	s_barrier
	ds_read2_b64 v[0:3], v49 offset1:70
	ds_read2_b64 v[4:7], v49 offset0:140 offset1:210
	ds_read2_b64 v[8:11], v38 offset0:24 offset1:94
	ds_read_b64 v[12:13], v49 offset:3360
	s_waitcnt lgkmcnt(3)
	v_mul_f32_e32 v14, v29, v3
	v_fmac_f32_e32 v14, v28, v2
	v_mul_f32_e32 v2, v29, v2
	v_fma_f32 v2, v28, v3, -v2
	s_waitcnt lgkmcnt(2)
	v_mul_f32_e32 v3, v31, v5
	v_fmac_f32_e32 v3, v30, v4
	v_mul_f32_e32 v4, v31, v4
	v_fma_f32 v4, v30, v5, -v4
	v_mul_f32_e32 v5, v25, v7
	v_fmac_f32_e32 v5, v24, v6
	v_mul_f32_e32 v6, v25, v6
	v_fma_f32 v6, v24, v7, -v6
	s_waitcnt lgkmcnt(1)
	v_mul_f32_e32 v7, v27, v9
	v_fmac_f32_e32 v7, v26, v8
	v_mul_f32_e32 v8, v27, v8
	v_fma_f32 v8, v26, v9, -v8
	v_mul_f32_e32 v9, v21, v11
	v_fmac_f32_e32 v9, v20, v10
	v_mul_f32_e32 v10, v21, v10
	v_fma_f32 v10, v20, v11, -v10
	s_waitcnt lgkmcnt(0)
	v_mul_f32_e32 v11, v23, v13
	v_fmac_f32_e32 v11, v22, v12
	v_mul_f32_e32 v12, v23, v12
	v_fma_f32 v12, v22, v13, -v12
	v_add_f32_e32 v13, v14, v11
	v_add_f32_e32 v15, v2, v12
	v_sub_f32_e32 v2, v2, v12
	v_add_f32_e32 v12, v3, v9
	v_sub_f32_e32 v11, v14, v11
	;; [unrolled: 2-line block ×6, first 2 shown]
	v_add_f32_e32 v8, v14, v15
	v_add_f32_e32 v7, v9, v7
	;; [unrolled: 1-line block ×4, first 2 shown]
	v_sub_f32_e32 v16, v12, v13
	v_sub_f32_e32 v17, v14, v15
	;; [unrolled: 1-line block ×6, first 2 shown]
	v_add_f32_e32 v18, v5, v3
	v_add_f32_e32 v19, v6, v4
	v_sub_f32_e32 v20, v5, v3
	v_sub_f32_e32 v21, v6, v4
	v_add_f32_e32 v1, v1, v8
	v_mov_b32_e32 v22, v0
	v_sub_f32_e32 v5, v11, v5
	v_sub_f32_e32 v6, v2, v6
	;; [unrolled: 1-line block ×4, first 2 shown]
	v_add_f32_e32 v9, v18, v11
	v_add_f32_e32 v2, v19, v2
	v_mul_f32_e32 v10, 0x3f4a47b2, v13
	v_mul_f32_e32 v11, 0x3f4a47b2, v15
	;; [unrolled: 1-line block ×6, first 2 shown]
	v_fmac_f32_e32 v22, 0xbf955555, v7
	v_mov_b32_e32 v7, v1
	v_mul_f32_e32 v20, 0xbf5ff5aa, v3
	v_mul_f32_e32 v21, 0xbf5ff5aa, v4
	v_fmac_f32_e32 v7, 0xbf955555, v8
	v_fma_f32 v8, v16, s5, -v13
	v_fma_f32 v13, v17, s5, -v15
	;; [unrolled: 1-line block ×3, first 2 shown]
	v_fmac_f32_e32 v10, 0x3d64c772, v12
	v_fma_f32 v12, v17, s8, -v11
	v_fmac_f32_e32 v11, 0x3d64c772, v14
	v_fma_f32 v14, v3, s4, -v18
	;; [unrolled: 2-line block ×4, first 2 shown]
	v_fma_f32 v20, v6, s9, -v21
	v_add_f32_e32 v21, v10, v22
	v_add_f32_e32 v23, v11, v7
	v_fmac_f32_e32 v18, 0xbee1c552, v9
	v_fmac_f32_e32 v19, 0xbee1c552, v2
	v_add_f32_e32 v8, v8, v22
	v_add_f32_e32 v10, v13, v7
	;; [unrolled: 1-line block ×4, first 2 shown]
	v_fmac_f32_e32 v14, 0xbee1c552, v9
	v_fmac_f32_e32 v16, 0xbee1c552, v2
	;; [unrolled: 1-line block ×4, first 2 shown]
	v_add_f32_e32 v2, v19, v21
	v_sub_f32_e32 v3, v23, v18
	v_add_f32_e32 v4, v20, v11
	v_sub_f32_e32 v5, v12, v17
	v_sub_f32_e32 v6, v8, v16
	v_add_f32_e32 v7, v14, v10
	v_add_f32_e32 v8, v16, v8
	v_sub_f32_e32 v9, v10, v14
	v_sub_f32_e32 v10, v11, v20
	v_add_f32_e32 v11, v17, v12
	ds_write2_b64 v48, v[0:1], v[2:3] offset1:70
	ds_write2_b64 v48, v[4:5], v[6:7] offset0:140 offset1:210
	v_add_u32_e32 v0, 0x800, v48
	v_sub_f32_e32 v12, v21, v19
	v_add_f32_e32 v13, v18, v23
	ds_write2_b64 v0, v[8:9], v[10:11] offset0:24 offset1:94
	ds_write_b64 v48, v[12:13] offset:3360
	s_waitcnt lgkmcnt(0)
	s_barrier
	s_and_b64 exec, exec, vcc
	s_cbranch_execz .LBB0_15
; %bb.14:
	global_load_dwordx2 v[9:10], v46, s[12:13]
	global_load_dwordx2 v[11:12], v46, s[12:13] offset:392
	global_load_dwordx2 v[13:14], v46, s[12:13] offset:784
	;; [unrolled: 1-line block ×4, first 2 shown]
	ds_read2_b64 v[1:4], v48 offset0:49 offset1:98
	ds_read2_b64 v[5:8], v48 offset0:147 offset1:196
	global_load_dwordx2 v[23:24], v46, s[12:13] offset:1960
	global_load_dwordx2 v[25:26], v46, s[12:13] offset:2352
	;; [unrolled: 1-line block ×3, first 2 shown]
	v_mad_u64_u32 v[19:20], s[4:5], s2, v44, 0
	v_mad_u64_u32 v[21:22], s[8:9], s0, v45, 0
	v_mov_b32_e32 v40, s7
	s_mul_i32 s2, s1, 0x188
	s_mul_hi_u32 s7, s0, 0x188
	ds_read_b64 v[29:30], v48
	ds_read_b64 v[31:32], v48 offset:3528
	global_load_dwordx2 v[33:34], v46, s[12:13] offset:3136
	global_load_dwordx2 v[35:36], v46, s[12:13] offset:3528
	s_add_i32 s7, s7, s2
	v_mad_u64_u32 v[37:38], s[2:3], s3, v44, v[20:21]
	s_mulk_i32 s0, 0x188
	v_mov_b32_e32 v41, s7
	v_mov_b32_e32 v20, v37
	v_lshlrev_b64 v[19:20], 3, v[19:20]
	s_mov_b32 s4, 0xec259dc8
	v_add_co_u32_e32 v19, vcc, s6, v19
	v_addc_co_u32_e32 v20, vcc, v40, v20, vcc
	s_mov_b32 s5, 0x3f60b7e6
	v_mov_b32_e32 v42, s7
	s_waitcnt vmcnt(8) lgkmcnt(3)
	v_mul_f32_e32 v40, v2, v12
	v_mul_f32_e32 v12, v1, v12
	s_waitcnt vmcnt(6) lgkmcnt(2)
	v_mul_f32_e32 v43, v6, v16
	v_mul_f32_e32 v16, v5, v16
	s_waitcnt vmcnt(4)
	v_mad_u64_u32 v[38:39], s[2:3], s1, v45, v[22:23]
	v_mov_b32_e32 v39, s7
	v_fmac_f32_e32 v40, v1, v11
	v_mov_b32_e32 v22, v38
	v_lshlrev_b64 v[21:22], 3, v[21:22]
	v_fmac_f32_e32 v43, v5, v15
	v_add_co_u32_e32 v19, vcc, v19, v21
	v_addc_co_u32_e32 v20, vcc, v20, v22, vcc
	v_add_co_u32_e32 v21, vcc, s0, v19
	v_addc_co_u32_e32 v22, vcc, v20, v41, vcc
	v_add_co_u32_e32 v37, vcc, s0, v21
	v_addc_co_u32_e32 v38, vcc, v22, v39, vcc
	s_waitcnt lgkmcnt(1)
	v_mul_f32_e32 v39, v30, v10
	v_mul_f32_e32 v10, v29, v10
	;; [unrolled: 1-line block ×4, first 2 shown]
	v_fmac_f32_e32 v39, v29, v9
	v_fma_f32 v9, v9, v30, -v10
	v_fma_f32 v10, v11, v2, -v12
	v_fmac_f32_e32 v41, v3, v13
	v_fma_f32 v13, v13, v4, -v14
	v_cvt_f64_f32_e32 v[1:2], v39
	v_cvt_f64_f32_e32 v[3:4], v9
	v_fma_f32 v29, v15, v6, -v16
	v_cvt_f64_f32_e32 v[5:6], v40
	v_cvt_f64_f32_e32 v[9:10], v10
	;; [unrolled: 1-line block ×4, first 2 shown]
	v_mul_f64 v[1:2], v[1:2], s[4:5]
	v_mul_f64 v[3:4], v[3:4], s[4:5]
	v_mul_f64 v[5:6], v[5:6], s[4:5]
	v_mul_f64 v[9:10], v[9:10], s[4:5]
	v_mul_f64 v[11:12], v[11:12], s[4:5]
	v_mul_f64 v[13:14], v[13:14], s[4:5]
	v_cvt_f64_f32_e32 v[15:16], v43
	v_cvt_f64_f32_e32 v[29:30], v29
	v_cvt_f32_f64_e32 v1, v[1:2]
	v_cvt_f32_f64_e32 v2, v[3:4]
	v_mul_f64 v[15:16], v[15:16], s[4:5]
	v_mul_f64 v[29:30], v[29:30], s[4:5]
	v_cvt_f32_f64_e32 v3, v[5:6]
	v_cvt_f32_f64_e32 v4, v[9:10]
	;; [unrolled: 1-line block ×4, first 2 shown]
	global_store_dwordx2 v[19:20], v[1:2], off
	global_store_dwordx2 v[21:22], v[3:4], off
	;; [unrolled: 1-line block ×3, first 2 shown]
	v_mul_f32_e32 v1, v7, v18
	v_mul_f32_e32 v44, v8, v18
	v_fma_f32 v1, v17, v8, -v1
	v_fmac_f32_e32 v44, v7, v17
	v_cvt_f64_f32_e32 v[7:8], v1
	v_add_u32_e32 v1, 0x400, v48
	ds_read2_b64 v[1:4], v1 offset0:117 offset1:166
	v_cvt_f32_f64_e32 v9, v[15:16]
	v_cvt_f32_f64_e32 v10, v[29:30]
	v_cvt_f64_f32_e32 v[5:6], v44
	v_add_co_u32_e32 v11, vcc, s0, v37
	v_addc_co_u32_e32 v12, vcc, v38, v42, vcc
	global_store_dwordx2 v[11:12], v[9:10], off
	s_waitcnt lgkmcnt(0)
	v_mul_f32_e32 v9, v2, v24
	v_mul_f64 v[5:6], v[5:6], s[4:5]
	v_mul_f64 v[7:8], v[7:8], s[4:5]
	v_fmac_f32_e32 v9, v1, v23
	v_mul_f32_e32 v1, v1, v24
	v_fma_f32 v1, v23, v2, -v1
	v_cvt_f64_f32_e32 v[1:2], v1
	v_cvt_f64_f32_e32 v[9:10], v9
	v_mov_b32_e32 v13, s7
	v_cvt_f32_f64_e32 v5, v[5:6]
	v_mul_f64 v[1:2], v[1:2], s[4:5]
	v_cvt_f32_f64_e32 v6, v[7:8]
	v_mul_f64 v[7:8], v[9:10], s[4:5]
	v_mov_b32_e32 v10, s7
	v_add_co_u32_e32 v9, vcc, s0, v11
	v_addc_co_u32_e32 v10, vcc, v12, v10, vcc
	global_store_dwordx2 v[9:10], v[5:6], off
	v_cvt_f32_f64_e32 v6, v[1:2]
	s_waitcnt vmcnt(8)
	v_mul_f32_e32 v1, v4, v26
	v_fmac_f32_e32 v1, v3, v25
	v_cvt_f32_f64_e32 v5, v[7:8]
	v_cvt_f64_f32_e32 v[7:8], v1
	v_mul_f32_e32 v1, v3, v26
	v_fma_f32 v1, v25, v4, -v1
	v_cvt_f64_f32_e32 v[11:12], v1
	ds_read2_b64 v[0:3], v0 offset0:87 offset1:136
	v_add_co_u32_e32 v9, vcc, s0, v9
	v_addc_co_u32_e32 v10, vcc, v10, v13, vcc
	global_store_dwordx2 v[9:10], v[5:6], off
	v_mul_f64 v[4:5], v[7:8], s[4:5]
	s_waitcnt vmcnt(8) lgkmcnt(0)
	v_mul_f32_e32 v8, v1, v28
	v_fmac_f32_e32 v8, v0, v27
	v_mul_f32_e32 v0, v0, v28
	v_fma_f32 v0, v27, v1, -v0
	v_mul_f64 v[6:7], v[11:12], s[4:5]
	v_cvt_f64_f32_e32 v[0:1], v0
	v_cvt_f64_f32_e32 v[11:12], v8
	v_cvt_f32_f64_e32 v4, v[4:5]
	v_add_co_u32_e32 v8, vcc, s0, v9
	v_mul_f64 v[0:1], v[0:1], s[4:5]
	v_cvt_f32_f64_e32 v5, v[6:7]
	v_mul_f64 v[6:7], v[11:12], s[4:5]
	v_mov_b32_e32 v11, s7
	v_addc_co_u32_e32 v9, vcc, v10, v11, vcc
	global_store_dwordx2 v[8:9], v[4:5], off
	v_cvt_f32_f64_e32 v5, v[0:1]
	s_waitcnt vmcnt(8)
	v_mul_f32_e32 v0, v3, v34
	v_fmac_f32_e32 v0, v2, v33
	v_mul_f32_e32 v2, v2, v34
	v_fma_f32 v2, v33, v3, -v2
	v_cvt_f64_f32_e32 v[0:1], v0
	v_cvt_f64_f32_e32 v[2:3], v2
	v_cvt_f32_f64_e32 v4, v[6:7]
	v_mov_b32_e32 v7, s7
	v_add_co_u32_e32 v6, vcc, s0, v8
	v_mul_f64 v[0:1], v[0:1], s[4:5]
	v_mul_f64 v[2:3], v[2:3], s[4:5]
	v_addc_co_u32_e32 v7, vcc, v9, v7, vcc
	global_store_dwordx2 v[6:7], v[4:5], off
	s_waitcnt vmcnt(8)
	v_mul_f32_e32 v4, v32, v36
	v_mul_f32_e32 v8, v31, v36
	v_fmac_f32_e32 v4, v31, v35
	v_fma_f32 v8, v35, v32, -v8
	v_cvt_f64_f32_e32 v[4:5], v4
	v_cvt_f64_f32_e32 v[8:9], v8
	v_cvt_f32_f64_e32 v0, v[0:1]
	v_cvt_f32_f64_e32 v1, v[2:3]
	v_mul_f64 v[2:3], v[4:5], s[4:5]
	v_mul_f64 v[4:5], v[8:9], s[4:5]
	v_mov_b32_e32 v8, s7
	v_add_co_u32_e32 v6, vcc, s0, v6
	v_addc_co_u32_e32 v7, vcc, v7, v8, vcc
	global_store_dwordx2 v[6:7], v[0:1], off
	v_cvt_f32_f64_e32 v0, v[2:3]
	v_cvt_f32_f64_e32 v1, v[4:5]
	v_mov_b32_e32 v3, s7
	v_add_co_u32_e32 v2, vcc, s0, v6
	v_addc_co_u32_e32 v3, vcc, v7, v3, vcc
	global_store_dwordx2 v[2:3], v[0:1], off
.LBB0_15:
	s_endpgm
	.section	.rodata,"a",@progbits
	.p2align	6, 0x0
	.amdhsa_kernel bluestein_single_back_len490_dim1_sp_op_CI_CI
		.amdhsa_group_segment_fixed_size 11760
		.amdhsa_private_segment_fixed_size 0
		.amdhsa_kernarg_size 104
		.amdhsa_user_sgpr_count 6
		.amdhsa_user_sgpr_private_segment_buffer 1
		.amdhsa_user_sgpr_dispatch_ptr 0
		.amdhsa_user_sgpr_queue_ptr 0
		.amdhsa_user_sgpr_kernarg_segment_ptr 1
		.amdhsa_user_sgpr_dispatch_id 0
		.amdhsa_user_sgpr_flat_scratch_init 0
		.amdhsa_user_sgpr_private_segment_size 0
		.amdhsa_uses_dynamic_stack 0
		.amdhsa_system_sgpr_private_segment_wavefront_offset 0
		.amdhsa_system_sgpr_workgroup_id_x 1
		.amdhsa_system_sgpr_workgroup_id_y 0
		.amdhsa_system_sgpr_workgroup_id_z 0
		.amdhsa_system_sgpr_workgroup_info 0
		.amdhsa_system_vgpr_workitem_id 0
		.amdhsa_next_free_vgpr 80
		.amdhsa_next_free_sgpr 16
		.amdhsa_reserve_vcc 1
		.amdhsa_reserve_flat_scratch 0
		.amdhsa_float_round_mode_32 0
		.amdhsa_float_round_mode_16_64 0
		.amdhsa_float_denorm_mode_32 3
		.amdhsa_float_denorm_mode_16_64 3
		.amdhsa_dx10_clamp 1
		.amdhsa_ieee_mode 1
		.amdhsa_fp16_overflow 0
		.amdhsa_exception_fp_ieee_invalid_op 0
		.amdhsa_exception_fp_denorm_src 0
		.amdhsa_exception_fp_ieee_div_zero 0
		.amdhsa_exception_fp_ieee_overflow 0
		.amdhsa_exception_fp_ieee_underflow 0
		.amdhsa_exception_fp_ieee_inexact 0
		.amdhsa_exception_int_div_zero 0
	.end_amdhsa_kernel
	.text
.Lfunc_end0:
	.size	bluestein_single_back_len490_dim1_sp_op_CI_CI, .Lfunc_end0-bluestein_single_back_len490_dim1_sp_op_CI_CI
                                        ; -- End function
	.section	.AMDGPU.csdata,"",@progbits
; Kernel info:
; codeLenInByte = 7440
; NumSgprs: 20
; NumVgprs: 80
; ScratchSize: 0
; MemoryBound: 0
; FloatMode: 240
; IeeeMode: 1
; LDSByteSize: 11760 bytes/workgroup (compile time only)
; SGPRBlocks: 2
; VGPRBlocks: 19
; NumSGPRsForWavesPerEU: 20
; NumVGPRsForWavesPerEU: 80
; Occupancy: 3
; WaveLimiterHint : 1
; COMPUTE_PGM_RSRC2:SCRATCH_EN: 0
; COMPUTE_PGM_RSRC2:USER_SGPR: 6
; COMPUTE_PGM_RSRC2:TRAP_HANDLER: 0
; COMPUTE_PGM_RSRC2:TGID_X_EN: 1
; COMPUTE_PGM_RSRC2:TGID_Y_EN: 0
; COMPUTE_PGM_RSRC2:TGID_Z_EN: 0
; COMPUTE_PGM_RSRC2:TIDIG_COMP_CNT: 0
	.type	__hip_cuid_1705dc05babec896,@object ; @__hip_cuid_1705dc05babec896
	.section	.bss,"aw",@nobits
	.globl	__hip_cuid_1705dc05babec896
__hip_cuid_1705dc05babec896:
	.byte	0                               ; 0x0
	.size	__hip_cuid_1705dc05babec896, 1

	.ident	"AMD clang version 19.0.0git (https://github.com/RadeonOpenCompute/llvm-project roc-6.4.0 25133 c7fe45cf4b819c5991fe208aaa96edf142730f1d)"
	.section	".note.GNU-stack","",@progbits
	.addrsig
	.addrsig_sym __hip_cuid_1705dc05babec896
	.amdgpu_metadata
---
amdhsa.kernels:
  - .args:
      - .actual_access:  read_only
        .address_space:  global
        .offset:         0
        .size:           8
        .value_kind:     global_buffer
      - .actual_access:  read_only
        .address_space:  global
        .offset:         8
        .size:           8
        .value_kind:     global_buffer
      - .actual_access:  read_only
        .address_space:  global
        .offset:         16
        .size:           8
        .value_kind:     global_buffer
      - .actual_access:  read_only
        .address_space:  global
        .offset:         24
        .size:           8
        .value_kind:     global_buffer
      - .actual_access:  read_only
        .address_space:  global
        .offset:         32
        .size:           8
        .value_kind:     global_buffer
      - .offset:         40
        .size:           8
        .value_kind:     by_value
      - .address_space:  global
        .offset:         48
        .size:           8
        .value_kind:     global_buffer
      - .address_space:  global
        .offset:         56
        .size:           8
        .value_kind:     global_buffer
      - .address_space:  global
        .offset:         64
        .size:           8
        .value_kind:     global_buffer
      - .address_space:  global
        .offset:         72
        .size:           8
        .value_kind:     global_buffer
      - .offset:         80
        .size:           4
        .value_kind:     by_value
      - .address_space:  global
        .offset:         88
        .size:           8
        .value_kind:     global_buffer
      - .address_space:  global
        .offset:         96
        .size:           8
        .value_kind:     global_buffer
    .group_segment_fixed_size: 11760
    .kernarg_segment_align: 8
    .kernarg_segment_size: 104
    .language:       OpenCL C
    .language_version:
      - 2
      - 0
    .max_flat_workgroup_size: 210
    .name:           bluestein_single_back_len490_dim1_sp_op_CI_CI
    .private_segment_fixed_size: 0
    .sgpr_count:     20
    .sgpr_spill_count: 0
    .symbol:         bluestein_single_back_len490_dim1_sp_op_CI_CI.kd
    .uniform_work_group_size: 1
    .uses_dynamic_stack: false
    .vgpr_count:     80
    .vgpr_spill_count: 0
    .wavefront_size: 64
amdhsa.target:   amdgcn-amd-amdhsa--gfx906
amdhsa.version:
  - 1
  - 2
...

	.end_amdgpu_metadata
